;; amdgpu-corpus repo=ROCm/rocFFT kind=compiled arch=gfx950 opt=O3
	.text
	.amdgcn_target "amdgcn-amd-amdhsa--gfx950"
	.amdhsa_code_object_version 6
	.protected	fft_rtc_back_len297_factors_9_3_11_wgs_231_tpt_33_halfLds_sp_ip_CI_sbrr_dirReg ; -- Begin function fft_rtc_back_len297_factors_9_3_11_wgs_231_tpt_33_halfLds_sp_ip_CI_sbrr_dirReg
	.globl	fft_rtc_back_len297_factors_9_3_11_wgs_231_tpt_33_halfLds_sp_ip_CI_sbrr_dirReg
	.p2align	8
	.type	fft_rtc_back_len297_factors_9_3_11_wgs_231_tpt_33_halfLds_sp_ip_CI_sbrr_dirReg,@function
fft_rtc_back_len297_factors_9_3_11_wgs_231_tpt_33_halfLds_sp_ip_CI_sbrr_dirReg: ; @fft_rtc_back_len297_factors_9_3_11_wgs_231_tpt_33_halfLds_sp_ip_CI_sbrr_dirReg
; %bb.0:
	s_load_dwordx2 s[12:13], s[0:1], 0x18
	s_load_dwordx4 s[4:7], s[0:1], 0x0
	s_load_dwordx2 s[10:11], s[0:1], 0x50
	v_mul_u32_u24_e32 v1, 0x7c2, v0
	v_lshrrev_b32_e32 v2, 16, v1
	s_waitcnt lgkmcnt(0)
	s_load_dwordx2 s[8:9], s[12:13], 0x0
	v_mad_u64_u32 v[2:3], s[2:3], s2, 7, v[2:3]
	v_mov_b32_e32 v6, 0
	v_mov_b32_e32 v3, v6
	v_cmp_lt_u64_e64 s[2:3], s[6:7], 2
	s_and_b64 vcc, exec, s[2:3]
	v_mov_b64_e32 v[4:5], 0
	v_mov_b64_e32 v[10:11], v[2:3]
	s_cbranch_vccnz .LBB0_8
; %bb.1:
	s_load_dwordx2 s[2:3], s[0:1], 0x10
	s_add_u32 s14, s12, 8
	s_addc_u32 s15, s13, 0
	s_mov_b64 s[16:17], 1
	v_mov_b64_e32 v[4:5], 0
	s_waitcnt lgkmcnt(0)
	s_add_u32 s18, s2, 8
	s_addc_u32 s19, s3, 0
	v_mov_b64_e32 v[8:9], v[2:3]
.LBB0_2:                                ; =>This Inner Loop Header: Depth=1
	s_load_dwordx2 s[20:21], s[18:19], 0x0
                                        ; implicit-def: $vgpr10_vgpr11
	s_waitcnt lgkmcnt(0)
	v_or_b32_e32 v7, s21, v9
	v_cmp_ne_u64_e32 vcc, 0, v[6:7]
	s_and_saveexec_b64 s[2:3], vcc
	s_xor_b64 s[22:23], exec, s[2:3]
	s_cbranch_execz .LBB0_4
; %bb.3:                                ;   in Loop: Header=BB0_2 Depth=1
	v_cvt_f32_u32_e32 v1, s20
	v_cvt_f32_u32_e32 v3, s21
	s_sub_u32 s2, 0, s20
	s_subb_u32 s3, 0, s21
	v_fmac_f32_e32 v1, 0x4f800000, v3
	v_rcp_f32_e32 v1, v1
	s_nop 0
	v_mul_f32_e32 v1, 0x5f7ffffc, v1
	v_mul_f32_e32 v3, 0x2f800000, v1
	v_trunc_f32_e32 v3, v3
	v_fmac_f32_e32 v1, 0xcf800000, v3
	v_cvt_u32_f32_e32 v3, v3
	v_cvt_u32_f32_e32 v1, v1
	v_mul_lo_u32 v7, s2, v3
	v_mul_hi_u32 v10, s2, v1
	v_mul_lo_u32 v11, s3, v1
	v_add_u32_e32 v7, v10, v7
	v_mul_lo_u32 v14, s2, v1
	v_add_u32_e32 v7, v7, v11
	v_mul_hi_u32 v10, v1, v14
	v_mul_hi_u32 v13, v1, v7
	v_mul_lo_u32 v12, v1, v7
	v_mov_b32_e32 v11, v6
	v_lshl_add_u64 v[10:11], v[10:11], 0, v[12:13]
	v_mul_hi_u32 v13, v3, v14
	v_mul_lo_u32 v14, v3, v14
	v_add_co_u32_e32 v10, vcc, v10, v14
	v_mul_hi_u32 v12, v3, v7
	s_nop 0
	v_addc_co_u32_e32 v10, vcc, v11, v13, vcc
	v_mov_b32_e32 v11, v6
	s_nop 0
	v_addc_co_u32_e32 v13, vcc, 0, v12, vcc
	v_mul_lo_u32 v12, v3, v7
	v_lshl_add_u64 v[10:11], v[10:11], 0, v[12:13]
	v_add_co_u32_e32 v1, vcc, v1, v10
	v_mul_hi_u32 v10, s2, v1
	s_nop 0
	v_addc_co_u32_e32 v3, vcc, v3, v11, vcc
	v_mul_lo_u32 v7, s2, v3
	v_add_u32_e32 v7, v10, v7
	v_mul_lo_u32 v10, s3, v1
	v_add_u32_e32 v7, v7, v10
	v_mul_lo_u32 v12, s2, v1
	v_mul_hi_u32 v15, v3, v12
	v_mul_lo_u32 v16, v3, v12
	v_mul_hi_u32 v11, v1, v7
	;; [unrolled: 2-line block ×3, first 2 shown]
	v_mov_b32_e32 v13, v6
	v_lshl_add_u64 v[10:11], v[12:13], 0, v[10:11]
	v_add_co_u32_e32 v10, vcc, v10, v16
	v_mul_hi_u32 v14, v3, v7
	s_nop 0
	v_addc_co_u32_e32 v10, vcc, v11, v15, vcc
	v_mul_lo_u32 v12, v3, v7
	s_nop 0
	v_addc_co_u32_e32 v13, vcc, 0, v14, vcc
	v_mov_b32_e32 v11, v6
	v_lshl_add_u64 v[10:11], v[10:11], 0, v[12:13]
	v_add_co_u32_e32 v1, vcc, v1, v10
	v_mul_hi_u32 v12, v8, v1
	s_nop 0
	v_addc_co_u32_e32 v3, vcc, v3, v11, vcc
	v_mad_u64_u32 v[10:11], s[2:3], v8, v3, 0
	v_mov_b32_e32 v13, v6
	v_lshl_add_u64 v[10:11], v[12:13], 0, v[10:11]
	v_mad_u64_u32 v[14:15], s[2:3], v9, v1, 0
	v_add_co_u32_e32 v1, vcc, v10, v14
	v_mad_u64_u32 v[12:13], s[2:3], v9, v3, 0
	s_nop 0
	v_addc_co_u32_e32 v10, vcc, v11, v15, vcc
	v_mov_b32_e32 v11, v6
	s_nop 0
	v_addc_co_u32_e32 v13, vcc, 0, v13, vcc
	v_lshl_add_u64 v[10:11], v[10:11], 0, v[12:13]
	v_mul_lo_u32 v1, s21, v10
	v_mul_lo_u32 v3, s20, v11
	v_mad_u64_u32 v[12:13], s[2:3], s20, v10, 0
	v_add3_u32 v1, v13, v3, v1
	v_sub_u32_e32 v3, v9, v1
	v_mov_b32_e32 v7, s21
	v_sub_co_u32_e32 v16, vcc, v8, v12
	v_lshl_add_u64 v[14:15], v[10:11], 0, 1
	s_nop 0
	v_subb_co_u32_e64 v3, s[2:3], v3, v7, vcc
	v_subrev_co_u32_e64 v7, s[2:3], s20, v16
	v_subb_co_u32_e32 v1, vcc, v9, v1, vcc
	s_nop 0
	v_subbrev_co_u32_e64 v3, s[2:3], 0, v3, s[2:3]
	v_cmp_le_u32_e64 s[2:3], s21, v3
	v_cmp_le_u32_e32 vcc, s21, v1
	s_nop 0
	v_cndmask_b32_e64 v12, 0, -1, s[2:3]
	v_cmp_le_u32_e64 s[2:3], s20, v7
	s_nop 1
	v_cndmask_b32_e64 v7, 0, -1, s[2:3]
	v_cmp_eq_u32_e64 s[2:3], s21, v3
	s_nop 1
	v_cndmask_b32_e64 v3, v12, v7, s[2:3]
	v_lshl_add_u64 v[12:13], v[10:11], 0, 2
	v_cmp_ne_u32_e64 s[2:3], 0, v3
	v_cndmask_b32_e64 v7, 0, -1, vcc
	v_cmp_le_u32_e32 vcc, s20, v16
	v_cndmask_b32_e64 v3, v15, v13, s[2:3]
	s_nop 0
	v_cndmask_b32_e64 v13, 0, -1, vcc
	v_cmp_eq_u32_e32 vcc, s21, v1
	s_nop 1
	v_cndmask_b32_e32 v1, v7, v13, vcc
	v_cmp_ne_u32_e32 vcc, 0, v1
	v_cndmask_b32_e64 v1, v14, v12, s[2:3]
	s_nop 0
	v_cndmask_b32_e32 v11, v11, v3, vcc
	v_cndmask_b32_e32 v10, v10, v1, vcc
.LBB0_4:                                ;   in Loop: Header=BB0_2 Depth=1
	s_andn2_saveexec_b64 s[2:3], s[22:23]
	s_cbranch_execz .LBB0_6
; %bb.5:                                ;   in Loop: Header=BB0_2 Depth=1
	v_cvt_f32_u32_e32 v1, s20
	s_sub_i32 s22, 0, s20
	v_mov_b32_e32 v11, v6
	v_rcp_iflag_f32_e32 v1, v1
	s_nop 0
	v_mul_f32_e32 v1, 0x4f7ffffe, v1
	v_cvt_u32_f32_e32 v1, v1
	v_mul_lo_u32 v3, s22, v1
	v_mul_hi_u32 v3, v1, v3
	v_add_u32_e32 v1, v1, v3
	v_mul_hi_u32 v1, v8, v1
	v_mul_lo_u32 v3, v1, s20
	v_sub_u32_e32 v3, v8, v3
	v_add_u32_e32 v7, 1, v1
	v_subrev_u32_e32 v10, s20, v3
	v_cmp_le_u32_e32 vcc, s20, v3
	s_nop 1
	v_cndmask_b32_e32 v3, v3, v10, vcc
	v_cndmask_b32_e32 v1, v1, v7, vcc
	v_add_u32_e32 v7, 1, v1
	v_cmp_le_u32_e32 vcc, s20, v3
	s_nop 1
	v_cndmask_b32_e32 v10, v1, v7, vcc
.LBB0_6:                                ;   in Loop: Header=BB0_2 Depth=1
	s_or_b64 exec, exec, s[2:3]
	v_mad_u64_u32 v[12:13], s[2:3], v10, s20, 0
	s_load_dwordx2 s[2:3], s[14:15], 0x0
	s_add_u32 s16, s16, 1
	v_mul_lo_u32 v1, v11, s20
	v_mul_lo_u32 v3, v10, s21
	s_addc_u32 s17, s17, 0
	v_add3_u32 v1, v13, v3, v1
	v_sub_co_u32_e32 v3, vcc, v8, v12
	s_add_u32 s14, s14, 8
	s_nop 0
	v_subb_co_u32_e32 v1, vcc, v9, v1, vcc
	s_addc_u32 s15, s15, 0
	v_mov_b64_e32 v[8:9], s[6:7]
	s_waitcnt lgkmcnt(0)
	v_mul_lo_u32 v1, s2, v1
	v_mul_lo_u32 v7, s3, v3
	v_mad_u64_u32 v[4:5], s[2:3], s2, v3, v[4:5]
	s_add_u32 s18, s18, 8
	v_cmp_ge_u64_e32 vcc, s[16:17], v[8:9]
	v_add3_u32 v5, v7, v5, v1
	s_addc_u32 s19, s19, 0
	s_cbranch_vccnz .LBB0_8
; %bb.7:                                ;   in Loop: Header=BB0_2 Depth=1
	v_mov_b64_e32 v[8:9], v[10:11]
	s_branch .LBB0_2
.LBB0_8:
	s_lshl_b64 s[2:3], s[6:7], 3
	s_add_u32 s2, s12, s2
	s_addc_u32 s3, s13, s3
	s_load_dwordx2 s[6:7], s[2:3], 0x0
	s_load_dwordx2 s[12:13], s[0:1], 0x20
	s_mov_b32 s2, 0x7c1f07d
                                        ; implicit-def: $vgpr25
	s_waitcnt lgkmcnt(0)
	v_mul_lo_u32 v1, s6, v11
	v_mul_lo_u32 v3, s7, v10
	v_mad_u64_u32 v[4:5], s[0:1], s6, v10, v[4:5]
	v_add3_u32 v5, v3, v5, v1
	v_mul_hi_u32 v1, v0, s2
	v_mul_u32_u24_e32 v1, 33, v1
	v_sub_u32_e32 v34, v0, v1
	v_cmp_gt_u64_e32 vcc, s[12:13], v[10:11]
	v_cmp_le_u64_e64 s[0:1], s[12:13], v[10:11]
	v_add_u32_e32 v24, 33, v34
                                        ; implicit-def: $sgpr2_sgpr3
	s_and_saveexec_b64 s[6:7], s[0:1]
	s_xor_b64 s[0:1], exec, s[6:7]
; %bb.9:
	v_add_u32_e32 v24, 33, v34
	v_add_u32_e32 v25, 0x42, v34
	s_mov_b64 s[2:3], 0
; %bb.10:
	s_or_saveexec_b64 s[0:1], s[0:1]
	v_mov_b64_e32 v[14:15], s[2:3]
	v_lshl_add_u64 v[0:1], v[4:5], 3, s[10:11]
	v_mov_b64_e32 v[12:13], s[2:3]
	v_mov_b64_e32 v[10:11], s[2:3]
	;; [unrolled: 1-line block ×3, first 2 shown]
                                        ; implicit-def: $vgpr5
                                        ; implicit-def: $vgpr16
                                        ; implicit-def: $vgpr22
                                        ; implicit-def: $vgpr20
                                        ; implicit-def: $vgpr6
                                        ; implicit-def: $vgpr18
	s_xor_b64 exec, exec, s[0:1]
	s_cbranch_execz .LBB0_12
; %bb.11:
	v_mad_u64_u32 v[4:5], s[2:3], s8, v34, 0
	v_mov_b32_e32 v6, v5
	v_mad_u64_u32 v[6:7], s[2:3], s9, v34, v[6:7]
	v_mov_b32_e32 v5, v6
	v_lshl_add_u64 v[6:7], v[4:5], 3, v[0:1]
	v_mad_u64_u32 v[4:5], s[2:3], s8, v24, 0
	v_mov_b32_e32 v8, v5
	v_mad_u64_u32 v[8:9], s[2:3], s9, v24, v[8:9]
	v_mov_b32_e32 v5, v8
	v_add_u32_e32 v25, 0x42, v34
	v_lshl_add_u64 v[8:9], v[4:5], 3, v[0:1]
	v_mad_u64_u32 v[4:5], s[2:3], s8, v25, 0
	v_mov_b32_e32 v10, v5
	v_mad_u64_u32 v[10:11], s[2:3], s9, v25, v[10:11]
	v_mov_b32_e32 v5, v10
	v_add_u32_e32 v3, 0x63, v34
	;; [unrolled: 6-line block ×3, first 2 shown]
	v_lshl_add_u64 v[18:19], v[4:5], 3, v[0:1]
	global_load_dwordx2 v[4:5], v[6:7], off
	global_load_dwordx2 v[14:15], v[8:9], off
	;; [unrolled: 1-line block ×4, first 2 shown]
	v_mad_u64_u32 v[6:7], s[2:3], s8, v3, 0
	v_mov_b32_e32 v8, v7
	v_mad_u64_u32 v[8:9], s[2:3], s9, v3, v[8:9]
	v_mov_b32_e32 v7, v8
	v_add_u32_e32 v3, 0xa5, v34
	v_lshl_add_u64 v[18:19], v[6:7], 3, v[0:1]
	v_mad_u64_u32 v[6:7], s[2:3], s8, v3, 0
	v_mov_b32_e32 v8, v7
	v_mad_u64_u32 v[8:9], s[2:3], s9, v3, v[8:9]
	v_mov_b32_e32 v7, v8
	v_add_u32_e32 v3, 0xc6, v34
	v_lshl_add_u64 v[20:21], v[6:7], 3, v[0:1]
	;; [unrolled: 6-line block ×4, first 2 shown]
	global_load_dwordx2 v[8:9], v[18:19], off
	global_load_dwordx2 v[16:17], v[20:21], off
	;; [unrolled: 1-line block ×4, first 2 shown]
	v_mad_u64_u32 v[18:19], s[2:3], s8, v3, 0
	v_mov_b32_e32 v20, v19
	v_mad_u64_u32 v[20:21], s[2:3], s9, v3, v[20:21]
	v_mov_b32_e32 v19, v20
	v_lshl_add_u64 v[18:19], v[18:19], 3, v[0:1]
	global_load_dwordx2 v[20:21], v[18:19], off
	s_waitcnt vmcnt(3)
	v_mov_b32_e32 v19, v17
	s_waitcnt vmcnt(2)
	v_mov_b32_e32 v23, v7
	s_waitcnt vmcnt(1)
	v_mov_b32_e32 v22, v28
	v_mov_b32_e32 v7, v4
	v_mov_b32_e32 v18, v29
.LBB0_12:
	s_or_b64 exec, exec, s[0:1]
	s_mov_b32 s0, 0x24924925
	v_mul_hi_u32 v3, v2, s0
	v_sub_u32_e32 v4, v2, v3
	v_lshrrev_b32_e32 v4, 1, v4
	v_add_u32_e32 v3, v4, v3
	v_lshrrev_b32_e32 v3, 2, v3
	v_mul_lo_u32 v3, v3, 7
	v_sub_u32_e32 v2, v2, v3
	v_mul_u32_u24_e32 v3, 0x129, v2
	v_lshlrev_b32_e32 v56, 2, v3
	v_add_u32_e32 v3, 0, v56
	s_waitcnt vmcnt(0)
	v_pk_add_f32 v[32:33], v[20:21], v[14:15]
	v_mad_u32_u24 v57, v34, 36, v3
	v_lshl_add_u32 v36, v34, 2, v3
	v_lshl_add_u32 v58, v24, 2, v3
	;; [unrolled: 1-line block ×3, first 2 shown]
	v_mov_b32_e32 v38, v10
	v_mov_b32_e32 v39, v13
	v_mul_f32_e32 v3, 0x3f441b7d, v32
	v_pk_add_f32 v[40:41], v[14:15], v[20:21] neg_lo:[0,1] neg_hi:[0,1]
	v_pk_add_f32 v[44:45], v[38:39], v[22:23] neg_lo:[0,1] neg_hi:[0,1]
	v_pk_add_f32 v[38:39], v[22:23], v[38:39]
	v_mov_b32_e32 v14, v15
	v_mov_b32_e32 v15, v13
	;; [unrolled: 1-line block ×5, first 2 shown]
	v_sub_f32_e32 v29, v12, v6
	v_pk_add_f32 v[12:13], v[6:7], v[12:13]
	v_pk_add_f32 v[54:55], v[38:39], v[32:33] op_sel_hi:[0,1]
	v_pk_mul_f32 v[52:53], v[38:39], v[52:53] op_sel_hi:[0,1]
	v_mul_f32_e32 v2, 0x3f5db3d7, v29
	v_add_f32_e32 v31, v16, v8
	v_mov_b32_e32 v22, v21
	v_mov_b32_e32 v3, v12
	;; [unrolled: 1-line block ×3, first 2 shown]
	v_fmamk_f32 v30, v31, 0x3f441b7d, v7
	v_pk_add_f32 v[14:15], v[14:15], v[22:23] neg_lo:[0,1] neg_hi:[0,1]
	v_mul_f32_e32 v21, 0.5, v12
	v_pk_add_f32 v[22:23], v[6:7], v[2:3]
	v_mov_b32_e32 v20, v8
	v_pk_add_f32 v[52:53], v[54:55], v[12:13]
	v_mov_b32_e32 v6, v7
	v_fmac_f32_e32 v7, 0x3f441b7d, v38
	v_sub_f32_e32 v37, v8, v16
	s_mov_b32 s2, 0x3f7c1c5c
	v_fmac_f32_e32 v30, 0x3e31d0d4, v32
	v_pk_add_f32 v[20:21], v[52:53], v[20:21] neg_lo:[0,1] neg_hi:[0,1]
	v_pk_add_f32 v[52:53], v[52:53], v[8:9]
	v_fmac_f32_e32 v7, 0x3e31d0d4, v31
	v_mov_b32_e32 v8, v11
	s_mov_b32 s0, 0x3eaf1d44
	v_mul_f32_e32 v17, 0x3f708fb2, v31
	s_mov_b32 s3, 0x3f248dbb
	v_mul_f32_e32 v46, 0x3f7c1c5c, v37
	v_mov_b32_e32 v26, v19
	s_mov_b32 s10, 0xbf248dbb
	s_mov_b32 s6, 0xbf708fb2
	v_fmac_f32_e32 v30, -0.5, v12
	v_fmac_f32_e32 v7, -0.5, v12
	v_pk_add_f32 v[12:13], v[18:19], v[8:9]
	v_pk_add_f32 v[18:19], v[8:9], v[18:19] neg_lo:[0,1] neg_hi:[0,1]
	s_mov_b32 s1, 0x3f5db3d7
	v_fma_f32 v10, v44, s10, -v46
	v_pk_add_f32 v[52:53], v[52:53], v[16:17]
	v_pk_add_f32 v[16:17], v[20:21], v[16:17] neg_lo:[0,1] neg_hi:[0,1]
	v_add_f32_e32 v21, v54, v31
	s_mov_b32 s7, -0.5
	v_mov_b32_e32 v20, v38
	v_mov_b32_e32 v31, v23
	v_pk_mul_f32 v[22:23], v[18:19], s[2:3]
	v_mul_f32_e32 v28, 0x3f248dbb, v37
	v_fmac_f32_e32 v10, 0x3f5db3d7, v29
	v_pk_mul_f32 v[54:55], v[14:15], s[0:1]
	v_pk_fma_f32 v[20:21], v[20:21], s[6:7], v[30:31]
	v_pk_fma_f32 v[30:31], v[14:15], s[2:3], v[22:23] op_sel:[0,0,1] op_sel_hi:[0,1,0] neg_lo:[0,0,1] neg_hi:[0,0,1]
	v_pk_fma_f32 v[22:23], v[14:15], s[2:3], v[22:23] op_sel:[0,0,1] op_sel_hi:[0,1,0]
	v_mov_b32_e32 v29, v13
	v_mov_b32_e32 v42, v40
	v_mul_f32_e32 v47, 0x3f248dbb, v40
	v_fmamk_f32 v51, v33, 0x3f441b7d, v5
	v_pk_add_f32 v[30:31], v[30:31], v[54:55] op_sel:[0,1] neg_lo:[0,1] neg_hi:[0,1]
	v_pk_fma_f32 v[22:23], v[14:15], s[0:1], v[22:23]
	v_add_f32_e32 v8, v40, v37
	v_fmac_f32_e32 v10, 0x3eaf1d44, v40
	v_pk_fma_f32 v[28:29], v[40:41], s[2:3], v[28:29] neg_lo:[0,0,1] neg_hi:[0,0,1]
	v_fmamk_f32 v40, v13, 0x3f441b7d, v5
	v_mov_b32_e32 v43, v33
	v_mov_b32_e32 v31, v23
	;; [unrolled: 1-line block ×4, first 2 shown]
	v_fmac_f32_e32 v51, 0x3e31d0d4, v12
	v_fmac_f32_e32 v40, 0x3e31d0d4, v33
	v_pk_add_f32 v[22:23], v[42:43], v[22:23]
	v_fmamk_f32 v11, v12, 0x3f441b7d, v5
	v_fmac_f32_e32 v51, -0.5, v39
	v_fmac_f32_e32 v40, -0.5, v39
	v_lshlrev_b32_e32 v4, 5, v34
	v_fmac_f32_e32 v11, 0x3e31d0d4, v13
	v_fmac_f32_e32 v51, 0xbf708fb2, v13
	;; [unrolled: 1-line block ×3, first 2 shown]
	v_pk_add_f32 v[12:13], v[22:23], v[12:13]
	v_sub_u32_e32 v35, v57, v4
	v_mov_b32_e32 v45, v39
	v_mov_b32_e32 v4, 0x3eaf1d44
	v_mov_b32_e32 v3, 0.5
	v_mov_b32_e32 v29, v13
	v_pk_add_f32 v[42:43], v[4:5], v[44:45]
	v_sub_f32_e32 v8, v8, v44
	v_pk_add_f32 v[12:13], v[28:29], v[2:3] neg_lo:[0,1] neg_hi:[0,1]
	v_mul_f32_e32 v41, 0x3f5db3d7, v8
	v_pk_fma_f32 v[12:13], v[4:5], v[44:45], v[12:13]
	v_mul_f32_e32 v4, 0x3f7c1c5c, v19
	v_mov_b32_e32 v8, v9
	v_mov_b32_e32 v9, v2
	v_pk_fma_f32 v[28:29], v[28:29], v[2:3], v[42:43] neg_lo:[1,0,0] neg_hi:[1,0,0]
	v_add_f32_e32 v2, v14, v19
	v_fma_f32 v4, v18, s10, -v4
	v_pk_fma_f32 v[30:31], v[18:19], s[0:1], v[30:31] op_sel_hi:[1,0,1]
	v_sub_f32_e32 v2, v2, v18
	v_mul_f32_e32 v15, 0x3f5db3d7, v2
	v_add_f32_e32 v2, v55, v4
	v_mov_b32_e32 v14, v30
	v_fmac_f32_e32 v7, 0xbf708fb2, v32
	v_add_f32_e32 v18, v54, v2
	v_fmac_f32_e32 v11, -0.5, v39
	v_pk_add_f32 v[20:21], v[20:21], v[14:15] neg_lo:[0,1] neg_hi:[0,1]
	v_fmac_f32_e32 v11, 0xbf708fb2, v33
	v_pk_add_f32 v[32:33], v[52:53], v[6:7] op_sel_hi:[1,0]
	v_pk_add_f32 v[16:17], v[16:17], v[30:31] neg_lo:[0,1] neg_hi:[0,1]
	v_sub_f32_e32 v6, v7, v18
	v_mov_b32_e32 v19, v15
	v_mov_b32_e32 v7, v21
	v_mul_f32_e32 v49, 0x3f7c1c5c, v44
	v_mov_b32_e32 v16, v20
	ds_write2_b32 v57, v32, v17 offset1:1
	ds_write2_b32 v57, v20, v21 offset0:2 offset1:3
	ds_write_b32 v57, v6 offset:16
	v_pk_fma_f32 v[6:7], v[18:19], 2.0, v[6:7] op_sel_hi:[1,0,1]
	v_mov_b32_e32 v46, v23
	v_mov_b32_e32 v48, v39
	v_pk_fma_f32 v[30:31], v[30:31], 2.0, v[16:17] op_sel_hi:[1,0,1]
	ds_write2_b32 v57, v6, v7 offset0:5 offset1:6
	ds_write2_b32 v57, v30, v31 offset0:7 offset1:8
	v_pk_add_f32 v[6:7], v[46:47], v[48:49]
	v_mul_f32_e32 v27, 0x3eaf1d44, v37
	v_mov_b32_e32 v13, v29
	v_pk_add_f32 v[6:7], v[6:7], v[8:9]
	v_pk_add_f32 v[28:29], v[12:13], v[40:41]
	;; [unrolled: 1-line block ×3, first 2 shown]
	v_mov_b32_e32 v50, v5
	v_add_f32_e32 v4, v10, v11
	v_add_u32_e32 v2, 0x200, v35
	v_pk_add_f32 v[8:9], v[50:51], v[6:7]
	v_mov_b32_e32 v11, v41
	v_mov_b32_e32 v5, v29
	s_waitcnt lgkmcnt(0)
	s_barrier
	ds_read2_b32 v[30:31], v35 offset0:99 offset1:132
	ds_read2_b32 v[42:43], v35 offset0:165 offset1:198
	ds_read_b32 v33, v58
	ds_read2_b32 v[44:45], v2 offset0:103 offset1:136
	ds_read_b32 v32, v36
	ds_read_b32 v38, v59
	s_waitcnt lgkmcnt(0)
	s_barrier
	ds_write2_b32 v57, v8, v9 offset1:1
	ds_write2_b32 v57, v28, v29 offset0:2 offset1:3
	ds_write_b32 v57, v4 offset:16
	v_pk_fma_f32 v[4:5], v[10:11], 2.0, v[4:5] op_sel_hi:[1,0,1] neg_lo:[1,0,0] neg_hi:[1,0,0]
	v_mov_b32_e32 v13, v7
	v_mov_b32_e32 v29, v9
	ds_write2_b32 v57, v4, v5 offset0:5 offset1:6
	v_pk_fma_f32 v[4:5], v[12:13], 2.0, v[28:29] op_sel_hi:[1,0,1] neg_lo:[1,0,0] neg_hi:[1,0,0]
	v_mov_b32_e32 v12, 57
	ds_write2_b32 v57, v4, v5 offset0:7 offset1:8
	v_mul_lo_u16_sdwa v4, v34, v12 dst_sel:DWORD dst_unused:UNUSED_PAD src0_sel:BYTE_0 src1_sel:DWORD
	v_lshrrev_b16_e32 v20, 9, v4
	v_mul_lo_u16_e32 v4, 9, v20
	v_sub_u16_e32 v37, v34, v4
	v_mul_lo_u16_sdwa v4, v24, v12 dst_sel:DWORD dst_unused:UNUSED_PAD src0_sel:BYTE_0 src1_sel:DWORD
	v_mul_lo_u16_sdwa v12, v25, v12 dst_sel:DWORD dst_unused:UNUSED_PAD src0_sel:BYTE_0 src1_sel:DWORD
	v_lshrrev_b16_e32 v52, 9, v4
	v_lshrrev_b16_e32 v54, 9, v12
	v_mul_lo_u16_e32 v4, 9, v52
	v_mul_lo_u16_e32 v12, 9, v54
	v_mov_b32_e32 v13, 4
	v_sub_u16_e32 v53, v24, v4
	v_sub_u16_e32 v55, v25, v12
	v_lshlrev_b32_sdwa v14, v13, v37 dst_sel:DWORD dst_unused:UNUSED_PAD src0_sel:DWORD src1_sel:BYTE_0
	v_lshlrev_b32_sdwa v15, v13, v53 dst_sel:DWORD dst_unused:UNUSED_PAD src0_sel:DWORD src1_sel:BYTE_0
	;; [unrolled: 1-line block ×3, first 2 shown]
	s_waitcnt lgkmcnt(0)
	s_barrier
	global_load_dwordx4 v[4:7], v14, s[4:5]
	global_load_dwordx4 v[8:11], v15, s[4:5]
	s_mov_b32 s0, s1
	global_load_dwordx4 v[12:15], v12, s[4:5]
	ds_read_b32 v21, v36
	ds_read2_b32 v[26:27], v35 offset0:99 offset1:132
	ds_read2_b32 v[28:29], v35 offset0:165 offset1:198
	;; [unrolled: 1-line block ×3, first 2 shown]
	ds_read_b32 v17, v58
	ds_read_b32 v18, v59
	v_cmp_lt_u32_e64 s[2:3], 26, v34
	s_waitcnt lgkmcnt(0)
	s_barrier
	s_waitcnt vmcnt(2)
	v_mul_f32_e32 v25, v26, v4
	v_mul_f32_e32 v41, v30, v5
	s_waitcnt vmcnt(1)
	v_mul_f32_e32 v46, v27, v8
	s_waitcnt vmcnt(0)
	v_mul_f32_e32 v24, v28, v13
	v_mul_f32_e32 v40, v23, v15
	v_fmac_f32_e32 v24, v42, v12
	v_fmac_f32_e32 v40, v45, v14
	v_mul_f32_e32 v39, v44, v11
	v_mul_f32_e32 v12, v28, v12
	;; [unrolled: 1-line block ×3, first 2 shown]
	v_add_f32_e32 v49, v38, v24
	v_add_f32_e32 v13, v24, v40
	v_pk_add_f32 v[24:25], v[24:25], v[40:41] neg_lo:[0,1] neg_hi:[0,1]
	v_mov_b32_e32 v41, v8
	v_mov_b32_e32 v8, v5
	v_mul_f32_e32 v16, v23, v14
	v_fma_f32 v23, v22, v10, -v39
	v_mov_b32_e32 v39, v40
	v_mov_b32_e32 v40, v4
	v_pk_mul_f32 v[4:5], v[26:27], v[8:9]
	v_mul_f32_e32 v47, v31, v9
	v_pk_fma_f32 v[4:5], v[30:31], v[40:41], v[4:5]
	v_mov_b32_e32 v27, v10
	v_mov_b32_e32 v30, v29
	;; [unrolled: 1-line block ×4, first 2 shown]
	v_mul_f32_e32 v19, v29, v6
	v_mov_b32_e32 v2, v15
	v_mov_b32_e32 v15, v7
	;; [unrolled: 1-line block ×5, first 2 shown]
	v_pk_mul_f32 v[6:7], v[30:31], v[10:11]
	v_fmac_f32_e32 v38, -0.5, v13
	v_pk_fma_f32 v[40:41], v[8:9], v[26:27], v[6:7]
	v_add_f32_e32 v6, v33, v5
	v_pk_add_f32 v[8:9], v[4:5], v[40:41]
	v_mov_b32_e32 v13, v5
	v_mov_b32_e32 v5, v46
	;; [unrolled: 1-line block ×3, first 2 shown]
	v_add_f32_e32 v42, v32, v4
	v_pk_fma_f32 v[50:51], -0.5, v[8:9], v[32:33] op_sel_hi:[0,1,1]
	v_pk_add_f32 v[32:33], v[4:5], v[46:47] neg_lo:[0,1] neg_hi:[0,1]
	v_mov_b32_e32 v29, v41
	v_add_f32_e32 v5, v33, v23
	v_mov_b32_e32 v4, v45
	v_pk_add_f32 v[26:27], v[12:13], v[28:29] neg_lo:[0,1] neg_hi:[0,1]
	v_pk_fma_f32 v[28:29], v[4:5], v[2:3], v[16:17] neg_lo:[1,0,0] neg_hi:[1,0,0]
	v_mov_b32_e32 v14, v3
	v_pk_add_f32 v[2:3], v[26:27], v[28:29]
	v_mov_b32_e32 v7, v51
	v_mov_b32_e32 v3, v43
	v_pk_fma_f32 v[30:31], v[2:3], v[14:15], v[18:19] neg_lo:[1,0,0] neg_hi:[1,0,0]
	v_mov_b32_e32 v2, v25
	v_mov_b32_e32 v3, v33
	;; [unrolled: 1-line block ×3, first 2 shown]
	v_pk_add_f32 v[2:3], v[2:3], v[22:23] neg_lo:[0,1] neg_hi:[0,1]
	v_mov_b32_e32 v4, v41
	v_pk_mul_f32 v[12:13], v[2:3], s[0:1] op_sel_hi:[1,0]
	v_pk_fma_f32 v[8:9], v[2:3], s[0:1], v[50:51] op_sel_hi:[1,0,1] neg_lo:[1,0,0] neg_hi:[1,0,0]
	v_mov_b32_e32 v5, v13
	s_movk_i32 s0, 0x6c
	v_mov_b32_e32 v3, 2
	v_pk_add_f32 v[10:11], v[6:7], v[4:5]
	v_sub_f32_e32 v4, v26, v28
	v_mad_u32_u24 v2, v20, s0, 0
	v_lshlrev_b32_sdwa v7, v3, v37 dst_sel:DWORD dst_unused:UNUSED_PAD src0_sel:DWORD src1_sel:BYTE_0
	v_mul_f32_e32 v48, 0x3f5db3d7, v4
	v_add3_u32 v37, v2, v7, v56
	v_mad_u32_u24 v2, v52, s0, 0
	v_lshlrev_b32_sdwa v7, v3, v53 dst_sel:DWORD dst_unused:UNUSED_PAD src0_sel:DWORD src1_sel:BYTE_0
	v_fmamk_f32 v6, v4, 0xbf5db3d7, v38
	v_pk_add_f32 v[4:5], v[48:49], v[38:39]
	v_mov_b32_e32 v51, v42
	v_mov_b32_e32 v13, v40
	v_add3_u32 v38, v2, v7, v56
	v_mad_u32_u24 v2, v54, s0, 0
	v_lshlrev_b32_sdwa v3, v3, v55 dst_sel:DWORD dst_unused:UNUSED_PAD src0_sel:DWORD src1_sel:BYTE_0
	v_pk_add_f32 v[12:13], v[50:51], v[12:13]
	v_add3_u32 v39, v2, v3, v56
	v_cmp_gt_u32_e64 s[0:1], 27, v34
	ds_write2_b32 v37, v13, v8 offset1:9
	ds_write_b32 v37, v12 offset:72
	ds_write2_b32 v38, v10, v9 offset1:9
	ds_write_b32 v38, v11 offset:72
	;; [unrolled: 2-line block ×3, first 2 shown]
	s_waitcnt lgkmcnt(0)
	s_barrier
	s_and_saveexec_b64 s[6:7], s[2:3]
	s_xor_b64 s[6:7], exec, s[6:7]
	s_or_saveexec_b64 s[6:7], s[6:7]
                                        ; implicit-def: $vgpr15
	s_xor_b64 exec, exec, s[6:7]
	s_cbranch_execz .LBB0_14
; %bb.13:
	ds_read_b32 v13, v36
	ds_read2_b32 v[8:9], v35 offset0:27 offset1:54
	ds_read2_b32 v[2:3], v35 offset0:81 offset1:108
	;; [unrolled: 1-line block ×4, first 2 shown]
	v_add_u32_e32 v10, 0x200, v35
	ds_read2_b32 v[14:15], v10 offset0:115 offset1:142
	s_waitcnt lgkmcnt(4)
	v_mov_b32_e32 v12, v9
	s_waitcnt lgkmcnt(3)
	v_mov_b32_e32 v10, v2
	;; [unrolled: 2-line block ×4, first 2 shown]
	v_mov_b32_e32 v9, v3
.LBB0_14:
	s_or_b64 exec, exec, s[6:7]
	s_mov_b32 s7, 0x3f5db3d7
	v_mov_b32_e32 v19, 0x3f5db3d7
	s_mov_b32 s6, s7
	v_mov_b32_e32 v20, v19
	v_pk_add_f32 v[2:3], v[20:21], v[24:25]
	v_pk_mul_f32 v[40:41], v[24:25], s[6:7]
	v_mov_b32_e32 v16, v19
	v_mov_b32_e32 v41, v3
	v_pk_add_f32 v[2:3], v[18:19], v[26:27]
	v_pk_mul_f32 v[42:43], v[26:27], s[6:7]
	v_pk_add_f32 v[16:17], v[16:17], v[32:33]
	v_mov_b32_e32 v3, v43
	v_pk_mul_f32 v[26:27], v[32:33], s[6:7]
	s_waitcnt lgkmcnt(0)
	v_mov_b32_e32 v27, v17
	v_pk_add_f32 v[16:17], v[2:3], v[28:29]
	v_add_f32_e32 v2, v25, v31
	v_fmac_f32_e32 v21, -0.5, v2
	v_mov_b32_e32 v22, v21
	v_pk_add_f32 v[2:3], v[40:41], v[30:31]
	v_mov_b32_e32 v31, v29
	v_mov_b32_e32 v41, v43
	v_pk_add_f32 v[18:19], v[26:27], v[22:23]
	v_sub_f32_e32 v27, v21, v26
	v_pk_add_f32 v[20:21], v[30:31], v[40:41] neg_lo:[0,1] neg_hi:[0,1]
	s_barrier
	ds_write2_b32 v37, v3, v18 offset1:9
	ds_write_b32 v37, v27 offset:72
	ds_write2_b32 v38, v19, v17 offset1:9
	ds_write_b32 v38, v21 offset:72
	;; [unrolled: 2-line block ×3, first 2 shown]
	s_waitcnt lgkmcnt(0)
	s_barrier
	s_waitcnt lgkmcnt(0)
                                        ; implicit-def: $vgpr22_vgpr23
	s_and_saveexec_b64 s[6:7], s[2:3]
	s_xor_b64 s[2:3], exec, s[6:7]
	s_cbranch_execnz .LBB0_18
; %bb.15:
	s_or_saveexec_b64 s[2:3], s[2:3]
                                        ; implicit-def: $vgpr25
	s_xor_b64 exec, exec, s[2:3]
	s_cbranch_execnz .LBB0_19
.LBB0_16:
	s_or_b64 exec, exec, s[2:3]
	s_and_b64 s[0:1], vcc, s[0:1]
	s_and_saveexec_b64 s[2:3], s[0:1]
	s_cbranch_execnz .LBB0_20
.LBB0_17:
	s_endpgm
.LBB0_18:
	v_mov_b64_e32 v[22:23], v[18:19]
                                        ; implicit-def: $vgpr36
                                        ; implicit-def: $vgpr35
	s_or_saveexec_b64 s[2:3], s[2:3]
                                        ; implicit-def: $vgpr25
	s_xor_b64 exec, exec, s[2:3]
	s_cbranch_execz .LBB0_16
.LBB0_19:
	ds_read_b32 v3, v36
	ds_read2_b32 v[26:27], v35 offset0:27 offset1:54
	ds_read2_b32 v[18:19], v35 offset0:189 offset1:216
	;; [unrolled: 1-line block ×4, first 2 shown]
	v_add_u32_e32 v2, 0x200, v35
	ds_read2_b32 v[24:25], v2 offset0:115 offset1:142
	s_waitcnt lgkmcnt(3)
	v_mov_b32_e32 v2, v18
	s_waitcnt lgkmcnt(2)
	v_mov_b32_e32 v16, v29
	;; [unrolled: 2-line block ×3, first 2 shown]
	v_mov_b32_e32 v22, v26
	v_mov_b32_e32 v23, v20
	;; [unrolled: 1-line block ×5, first 2 shown]
	s_or_b64 exec, exec, s[2:3]
	s_and_b64 s[0:1], vcc, s[0:1]
	s_and_saveexec_b64 s[2:3], s[0:1]
	s_cbranch_execz .LBB0_17
.LBB0_20:
	v_mul_u32_u24_e32 v7, 10, v34
	v_lshlrev_b32_e32 v7, 3, v7
	global_load_dwordx4 v[28:31], v7, s[4:5] offset:208
	global_load_dwordx4 v[36:39], v7, s[4:5] offset:144
	;; [unrolled: 1-line block ×5, first 2 shown]
	v_mad_u64_u32 v[32:33], s[0:1], s8, v34, 0
	v_mov_b32_e32 v26, v15
	v_add_u32_e32 v7, 27, v34
	v_add_u32_e32 v15, 54, v34
	v_mov_b32_e32 v56, v33
	v_mad_u64_u32 v[58:59], s[0:1], s8, v7, 0
	v_mad_u64_u32 v[60:61], s[0:1], s8, v15, 0
	;; [unrolled: 1-line block ×3, first 2 shown]
	v_mov_b32_e32 v62, v59
	v_mov_b32_e32 v64, v61
	;; [unrolled: 1-line block ×3, first 2 shown]
	v_mad_u64_u32 v[56:57], s[0:1], s9, v7, v[62:63]
	v_mad_u64_u32 v[62:63], s[0:1], s9, v15, v[64:65]
	v_mov_b32_e32 v54, v27
	v_mov_b32_e32 v59, v56
	;; [unrolled: 1-line block ×3, first 2 shown]
	s_waitcnt lgkmcnt(0)
	v_mov_b32_e32 v52, v25
	v_add_u32_e32 v35, 0x51, v34
	v_lshl_add_u64 v[32:33], v[32:33], 3, v[0:1]
	v_lshl_add_u64 v[58:59], v[58:59], 3, v[0:1]
	;; [unrolled: 1-line block ×3, first 2 shown]
	s_mov_b32 s3, 0xbf68dda4
	s_mov_b32 s2, 0x3ed4b147
	;; [unrolled: 1-line block ×24, first 2 shown]
	s_waitcnt vmcnt(4)
	v_pk_mul_f32 v[52:53], v[52:53], v[30:31] op_sel_hi:[0,1]
	s_waitcnt vmcnt(3)
	v_mul_f32_e32 v7, v8, v37
	v_mul_f32_e32 v56, v18, v37
	v_mov_b32_e32 v62, v39
	v_mov_b32_e32 v63, v38
	v_pk_mul_f32 v[38:39], v[12:13], v[38:39] op_sel_hi:[0,1]
	s_waitcnt vmcnt(2)
	v_pk_mul_f32 v[22:23], v[22:23], v[40:41] op_sel:[1,0]
	s_waitcnt vmcnt(1)
	v_pk_mul_f32 v[64:65], v[20:21], v[46:47] op_sel_hi:[0,1]
	v_pk_mul_f32 v[66:67], v[16:17], v[42:43] op_sel:[1,0]
	v_pk_mul_f32 v[68:69], v[2:3], v[44:45] op_sel_hi:[0,1]
	v_mov_b32_e32 v2, v13
	v_fma_f32 v57, v18, v36, -v7
	v_fmac_f32_e32 v56, v8, v36
	v_pk_fma_f32 v[18:19], v[54:55], v[62:63], v[38:39] op_sel_hi:[0,1,1]
	v_pk_fma_f32 v[36:37], v[54:55], v[62:63], v[38:39] op_sel_hi:[0,1,1] neg_lo:[0,0,1] neg_hi:[0,0,1]
	s_waitcnt vmcnt(0)
	v_pk_mul_f32 v[20:21], v[20:21], v[48:49] op_sel:[1,0]
	v_pk_fma_f32 v[54:55], v[8:9], v[42:43], v[66:67] op_sel:[1,0,1] op_sel_hi:[1,1,0]
	v_pk_fma_f32 v[42:43], v[8:9], v[42:43], v[66:67] op_sel:[1,0,1] op_sel_hi:[1,1,0] neg_lo:[1,0,0] neg_hi:[1,0,0]
	v_pk_fma_f32 v[62:63], v[10:11], v[40:41], v[22:23] op_sel:[0,0,1] op_sel_hi:[0,1,0]
	v_pk_fma_f32 v[22:23], v[10:11], v[40:41], v[22:23] op_sel:[0,0,1] op_sel_hi:[0,1,0] neg_lo:[1,0,0] neg_hi:[1,0,0]
	;; [unrolled: 2-line block ×4, first 2 shown]
	v_mov_b32_e32 v6, v18
	v_mov_b32_e32 v7, v37
	v_pk_add_f32 v[12:13], v[2:3], v[56:57]
	v_pk_mul_f32 v[16:17], v[16:17], v[50:51] op_sel_hi:[0,1]
	v_pk_fma_f32 v[68:69], v[10:11], v[48:49], v[20:21] op_sel:[1,0,1] op_sel_hi:[1,1,0]
	v_pk_fma_f32 v[48:49], v[10:11], v[48:49], v[20:21] op_sel:[1,0,1] op_sel_hi:[1,1,0] neg_lo:[1,0,0] neg_hi:[1,0,0]
	v_mov_b32_e32 v10, v62
	v_mov_b32_e32 v11, v23
	v_pk_add_f32 v[6:7], v[12:13], v[6:7]
	v_pk_fma_f32 v[74:75], v[4:5], v[50:51], v[16:17] op_sel:[1,0,1] op_sel_hi:[1,1,0]
	v_pk_fma_f32 v[50:51], v[4:5], v[50:51], v[16:17] op_sel:[1,0,1] op_sel_hi:[1,1,0] neg_lo:[1,0,0] neg_hi:[1,0,0]
	v_mov_b32_e32 v16, v54
	v_mov_b32_e32 v17, v43
	v_pk_add_f32 v[6:7], v[6:7], v[10:11]
	v_pk_mul_f32 v[24:25], v[24:25], v[28:29] op_sel_hi:[0,1]
	v_mov_b32_e32 v20, v68
	v_mov_b32_e32 v21, v49
	v_pk_add_f32 v[6:7], v[6:7], v[16:17]
	v_pk_fma_f32 v[70:71], v[26:27], v[30:31], v[52:53] op_sel:[0,0,1] op_sel_hi:[0,1,0]
	v_pk_fma_f32 v[30:31], v[26:27], v[30:31], v[52:53] op_sel:[0,0,1] op_sel_hi:[0,1,0] neg_lo:[1,0,0] neg_hi:[1,0,0]
	v_pk_fma_f32 v[52:53], v[14:15], v[28:29], v[24:25] op_sel:[0,0,1] op_sel_hi:[0,1,0]
	v_pk_fma_f32 v[72:73], v[14:15], v[28:29], v[24:25] op_sel:[0,0,1] op_sel_hi:[0,1,0] neg_lo:[1,0,0] neg_hi:[1,0,0]
	v_mov_b32_e32 v24, v74
	v_mov_b32_e32 v25, v51
	v_pk_add_f32 v[6:7], v[6:7], v[20:21]
	v_mov_b32_e32 v26, v64
	v_mov_b32_e32 v27, v45
	v_pk_add_f32 v[6:7], v[24:25], v[6:7]
	;; [unrolled: 3-line block ×5, first 2 shown]
	v_add_u32_e32 v9, 0x6c, v34
	v_pk_add_f32 v[4:5], v[4:5], v[6:7]
	global_store_dwordx2 v[32:33], v[4:5], off
	v_mad_u64_u32 v[4:5], s[0:1], s8, v35, 0
	v_mov_b32_e32 v6, v5
	v_mad_u64_u32 v[6:7], s[0:1], s9, v35, v[6:7]
	v_mov_b32_e32 v5, v6
	;; [unrolled: 2-line block ×3, first 2 shown]
	v_mad_u64_u32 v[8:9], s[0:1], s9, v9, v[8:9]
	v_add_u32_e32 v11, 0x87, v34
	v_mov_b32_e32 v7, v8
	v_mad_u64_u32 v[8:9], s[0:1], s8, v11, 0
	v_mov_b32_e32 v10, v9
	v_mad_u64_u32 v[10:11], s[0:1], s9, v11, v[10:11]
	v_add_u32_e32 v13, 0xa2, v34
	v_mov_b32_e32 v9, v10
	v_mad_u64_u32 v[10:11], s[0:1], s8, v13, 0
	v_mov_b32_e32 v12, v11
	;; [unrolled: 5-line block ×6, first 2 shown]
	v_mad_u64_u32 v[24:25], s[0:1], s9, v25, v[24:25]
	v_mov_b32_e32 v21, v24
	v_lshl_add_u64 v[24:25], v[6:7], 3, v[0:1]
	v_lshl_add_u64 v[6:7], v[10:11], 3, v[0:1]
	;; [unrolled: 1-line block ×3, first 2 shown]
	v_mov_b32_e32 v14, v57
	v_pk_add_f32 v[38:39], v[18:19], v[52:53]
	v_pk_add_f32 v[18:19], v[18:19], v[52:53] neg_lo:[0,1] neg_hi:[0,1]
	v_lshl_add_u64 v[46:47], v[4:5], 3, v[0:1]
	v_lshl_add_u64 v[4:5], v[8:9], 3, v[0:1]
	v_lshl_add_u64 v[8:9], v[12:13], 3, v[0:1]
	v_lshl_add_u64 v[12:13], v[16:17], 3, v[0:1]
	v_lshl_add_u64 v[0:1], v[20:21], 3, v[0:1]
	v_pk_add_f32 v[26:27], v[14:15], v[30:31] op_sel:[0,1] neg_lo:[0,1] neg_hi:[0,1]
	v_pk_add_f32 v[14:15], v[14:15], v[30:31] op_sel_hi:[0,1]
	v_pk_add_f32 v[32:33], v[56:57], v[70:71]
	v_pk_add_f32 v[16:17], v[56:57], v[70:71] neg_lo:[0,1] neg_hi:[0,1]
	v_mov_b32_e32 v39, v18
	v_pk_add_f32 v[30:31], v[22:23], v[40:41] neg_lo:[0,1] neg_hi:[0,1]
	v_pk_add_f32 v[18:19], v[22:23], v[40:41]
	v_pk_add_f32 v[40:41], v[62:63], v[66:67]
	v_pk_add_f32 v[20:21], v[62:63], v[66:67] neg_lo:[0,1] neg_hi:[0,1]
	s_mov_b32 s8, 0x3f575c64
	v_mov_b32_e32 v33, v16
	v_mov_b32_e32 v41, v20
	v_pk_add_f32 v[34:35], v[42:43], v[44:45] neg_lo:[0,1] neg_hi:[0,1]
	v_pk_add_f32 v[20:21], v[42:43], v[44:45]
	v_pk_add_f32 v[42:43], v[54:55], v[64:65]
	v_pk_add_f32 v[22:23], v[54:55], v[64:65] neg_lo:[0,1] neg_hi:[0,1]
	s_mov_b32 s9, 0xbf0a6770
	v_pk_add_f32 v[28:29], v[36:37], v[72:73] neg_lo:[0,1] neg_hi:[0,1]
	v_pk_add_f32 v[16:17], v[36:37], v[72:73]
	v_mov_b32_e32 v14, v26
	v_mov_b32_e32 v43, v22
	v_pk_add_f32 v[36:37], v[48:49], v[50:51] neg_lo:[0,1] neg_hi:[0,1]
	v_pk_add_f32 v[22:23], v[48:49], v[50:51]
	v_pk_add_f32 v[44:45], v[68:69], v[74:75]
	v_pk_add_f32 v[48:49], v[68:69], v[74:75] neg_lo:[0,1] neg_hi:[0,1]
	v_pk_mul_f32 v[50:51], v[32:33], s[8:9]
	s_mov_b32 s4, s9
	s_mov_b32 s5, s8
	v_mov_b32_e32 v16, v29
	v_mov_b32_e32 v45, v48
	v_pk_mul_f32 v[52:53], v[38:39], s[2:3]
	v_pk_fma_f32 v[48:49], v[26:27], s[4:5], v[50:51] neg_lo:[1,0,0] neg_hi:[1,0,0]
	v_pk_fma_f32 v[54:55], v[14:15], s[4:5], v[50:51]
	v_pk_fma_f32 v[56:57], v[28:29], s[22:23], v[52:53] op_sel:[1,0,0] neg_lo:[1,0,0] neg_hi:[1,0,0]
	v_mov_b32_e32 v49, v55
	v_pk_fma_f32 v[62:63], v[16:17], s[22:23], v[52:53]
	v_pk_add_f32 v[48:49], v[2:3], v[48:49]
	v_mov_b32_e32 v57, v63
	v_pk_add_f32 v[48:49], v[48:49], v[56:57]
	v_mov_b32_e32 v18, v31
	s_mov_b32 s0, s13
	s_mov_b32 s1, s12
	v_pk_mul_f32 v[56:57], v[40:41], s[12:13]
	v_mov_b32_e32 v20, v35
	v_pk_fma_f32 v[64:65], v[30:31], s[0:1], v[56:57] op_sel:[1,0,0] neg_lo:[1,0,0] neg_hi:[1,0,0]
	v_pk_fma_f32 v[66:67], v[18:19], s[0:1], v[56:57]
	v_pk_fma_f32 v[50:51], v[14:15], s[4:5], v[50:51] neg_lo:[0,0,1] neg_hi:[0,0,1]
	v_mov_b32_e32 v65, v67
	v_pk_add_f32 v[48:49], v[48:49], v[64:65]
	v_pk_mul_f32 v[64:65], v[42:43], s[14:15]
	v_mov_b32_e32 v55, v51
	v_pk_fma_f32 v[68:69], v[34:35], s[6:7], v[64:65] op_sel:[1,0,0] neg_lo:[1,0,0] neg_hi:[1,0,0]
	v_pk_fma_f32 v[70:71], v[20:21], s[6:7], v[64:65]
	v_pk_fma_f32 v[50:51], v[16:17], s[22:23], v[52:53] neg_lo:[0,0,1] neg_hi:[0,0,1]
	v_mov_b32_e32 v69, v71
	v_mov_b32_e32 v63, v51
	v_pk_add_f32 v[50:51], v[2:3], v[54:55]
	v_pk_fma_f32 v[52:53], v[18:19], s[0:1], v[56:57] neg_lo:[0,0,1] neg_hi:[0,0,1]
	v_pk_add_f32 v[48:49], v[48:49], v[68:69]
	v_mov_b32_e32 v22, v37
	v_pk_mul_f32 v[68:69], v[44:45], s[16:17]
	v_pk_add_f32 v[50:51], v[50:51], v[62:63]
	v_mov_b32_e32 v67, v53
	v_pk_fma_f32 v[52:53], v[20:21], s[6:7], v[64:65] neg_lo:[0,0,1] neg_hi:[0,0,1]
	v_pk_fma_f32 v[72:73], v[36:37], s[10:11], v[68:69] op_sel:[1,0,0] neg_lo:[1,0,0] neg_hi:[1,0,0]
	v_pk_fma_f32 v[74:75], v[22:23], s[10:11], v[68:69]
	v_pk_add_f32 v[50:51], v[50:51], v[66:67]
	v_mov_b32_e32 v71, v53
	v_pk_fma_f32 v[52:53], v[22:23], s[10:11], v[68:69] neg_lo:[0,0,1] neg_hi:[0,0,1]
	v_mov_b32_e32 v73, v75
	v_pk_add_f32 v[50:51], v[50:51], v[70:71]
	v_mov_b32_e32 v75, v53
	v_pk_add_f32 v[50:51], v[50:51], v[74:75]
	global_store_dwordx2 v[58:59], v[50:51], off
	v_pk_mul_f32 v[50:51], v[32:33], s[2:3]
	v_pk_mul_f32 v[52:53], v[38:39], s[14:15]
	v_pk_fma_f32 v[54:55], v[26:27], s[22:23], v[50:51] neg_lo:[1,0,0] neg_hi:[1,0,0]
	v_pk_fma_f32 v[56:57], v[14:15], s[22:23], v[50:51]
	v_pk_fma_f32 v[58:59], v[28:29], s[6:7], v[52:53] op_sel:[1,0,0] neg_lo:[1,0,0] neg_hi:[1,0,0]
	v_mov_b32_e32 v55, v57
	v_pk_fma_f32 v[62:63], v[16:17], s[6:7], v[52:53]
	v_pk_add_f32 v[54:55], v[2:3], v[54:55]
	v_mov_b32_e32 v59, v63
	v_pk_add_f32 v[54:55], v[54:55], v[58:59]
	v_pk_mul_f32 v[58:59], v[40:41], s[28:29]
	v_pk_fma_f32 v[50:51], v[14:15], s[22:23], v[50:51] neg_lo:[0,0,1] neg_hi:[0,0,1]
	v_pk_fma_f32 v[64:65], v[30:31], s[30:31], v[58:59] op_sel:[1,0,0] neg_lo:[1,0,0] neg_hi:[1,0,0]
	v_pk_fma_f32 v[66:67], v[18:19], s[30:31], v[58:59]
	v_mov_b32_e32 v57, v51
	v_mov_b32_e32 v65, v67
	v_pk_add_f32 v[54:55], v[54:55], v[64:65]
	v_pk_mul_f32 v[64:65], v[42:43], s[26:27]
	v_pk_fma_f32 v[50:51], v[16:17], s[6:7], v[52:53] neg_lo:[0,0,1] neg_hi:[0,0,1]
	v_pk_fma_f32 v[68:69], v[34:35], s[24:25], v[64:65] op_sel:[1,0,0] neg_lo:[1,0,0] neg_hi:[1,0,0]
	v_pk_fma_f32 v[70:71], v[20:21], s[24:25], v[64:65]
	s_mov_b32 s20, s8
	v_mov_b32_e32 v69, v71
	v_mov_b32_e32 v63, v51
	v_pk_add_f32 v[50:51], v[2:3], v[56:57]
	v_pk_fma_f32 v[52:53], v[18:19], s[30:31], v[58:59] neg_lo:[0,0,1] neg_hi:[0,0,1]
	v_pk_add_f32 v[54:55], v[54:55], v[68:69]
	s_mov_b32 s19, s8
	v_pk_mul_f32 v[68:69], v[44:45], s[20:21]
	v_pk_add_f32 v[50:51], v[50:51], v[62:63]
	v_mov_b32_e32 v67, v53
	v_pk_fma_f32 v[52:53], v[20:21], s[24:25], v[64:65] neg_lo:[0,0,1] neg_hi:[0,0,1]
	v_pk_add_f32 v[48:49], v[48:49], v[72:73]
	v_pk_fma_f32 v[72:73], v[36:37], s[18:19], v[68:69] op_sel:[1,0,0] neg_lo:[1,0,0] neg_hi:[1,0,0]
	v_pk_fma_f32 v[74:75], v[22:23], s[18:19], v[68:69]
	v_pk_add_f32 v[50:51], v[50:51], v[66:67]
	v_mov_b32_e32 v71, v53
	v_pk_fma_f32 v[52:53], v[22:23], s[18:19], v[68:69] neg_lo:[0,0,1] neg_hi:[0,0,1]
	v_mov_b32_e32 v73, v75
	v_pk_add_f32 v[50:51], v[50:51], v[70:71]
	v_mov_b32_e32 v75, v53
	v_pk_add_f32 v[50:51], v[50:51], v[74:75]
	global_store_dwordx2 v[60:61], v[50:51], off
	v_pk_mul_f32 v[50:51], v[32:33], s[12:13]
	v_pk_mul_f32 v[52:53], v[38:39], s[28:29]
	v_pk_fma_f32 v[56:57], v[26:27], s[0:1], v[50:51] neg_lo:[1,0,0] neg_hi:[1,0,0]
	v_pk_fma_f32 v[58:59], v[14:15], s[0:1], v[50:51]
	v_pk_fma_f32 v[60:61], v[28:29], s[30:31], v[52:53] op_sel:[1,0,0] neg_lo:[1,0,0] neg_hi:[1,0,0]
	v_mov_b32_e32 v57, v59
	v_pk_fma_f32 v[62:63], v[16:17], s[30:31], v[52:53]
	v_pk_add_f32 v[56:57], v[2:3], v[56:57]
	v_mov_b32_e32 v61, v63
	s_mov_b32 s3, 0x3f68dda4
	v_pk_add_f32 v[56:57], v[56:57], v[60:61]
	s_mov_b32 s22, s3
	v_pk_mul_f32 v[60:61], v[40:41], s[2:3]
	v_pk_fma_f32 v[50:51], v[14:15], s[0:1], v[50:51] neg_lo:[0,0,1] neg_hi:[0,0,1]
	v_pk_fma_f32 v[64:65], v[30:31], s[22:23], v[60:61] op_sel:[1,0,0] neg_lo:[1,0,0] neg_hi:[1,0,0]
	v_pk_fma_f32 v[66:67], v[18:19], s[22:23], v[60:61]
	v_mov_b32_e32 v59, v51
	v_mov_b32_e32 v65, v67
	v_pk_add_f32 v[56:57], v[56:57], v[64:65]
	v_pk_mul_f32 v[64:65], v[42:43], s[8:9]
	v_pk_fma_f32 v[50:51], v[16:17], s[30:31], v[52:53] neg_lo:[0,0,1] neg_hi:[0,0,1]
	v_pk_fma_f32 v[68:69], v[34:35], s[4:5], v[64:65] op_sel:[1,0,0] neg_lo:[1,0,0] neg_hi:[1,0,0]
	v_pk_fma_f32 v[70:71], v[20:21], s[4:5], v[64:65]
	v_mov_b32_e32 v63, v51
	v_mov_b32_e32 v69, v71
	v_pk_add_f32 v[50:51], v[2:3], v[58:59]
	v_pk_fma_f32 v[52:53], v[18:19], s[22:23], v[60:61] neg_lo:[0,0,1] neg_hi:[0,0,1]
	v_pk_add_f32 v[56:57], v[56:57], v[68:69]
	v_pk_mul_f32 v[68:69], v[44:45], s[14:15]
	v_pk_add_f32 v[50:51], v[50:51], v[62:63]
	v_mov_b32_e32 v67, v53
	v_pk_fma_f32 v[52:53], v[20:21], s[4:5], v[64:65] neg_lo:[0,0,1] neg_hi:[0,0,1]
	v_pk_add_f32 v[54:55], v[54:55], v[72:73]
	v_pk_fma_f32 v[72:73], v[36:37], s[6:7], v[68:69] op_sel:[1,0,0] neg_lo:[1,0,0] neg_hi:[1,0,0]
	v_pk_fma_f32 v[74:75], v[22:23], s[6:7], v[68:69]
	v_pk_add_f32 v[50:51], v[50:51], v[66:67]
	v_mov_b32_e32 v71, v53
	v_pk_fma_f32 v[52:53], v[22:23], s[6:7], v[68:69] neg_lo:[0,0,1] neg_hi:[0,0,1]
	v_mov_b32_e32 v73, v75
	v_pk_add_f32 v[50:51], v[50:51], v[70:71]
	v_mov_b32_e32 v75, v53
	v_pk_add_f32 v[50:51], v[50:51], v[74:75]
	global_store_dwordx2 v[46:47], v[50:51], off
	v_pk_mul_f32 v[46:47], v[32:33], s[14:15]
	v_pk_mul_f32 v[50:51], v[38:39], s[26:27]
	v_pk_fma_f32 v[52:53], v[26:27], s[6:7], v[46:47] neg_lo:[1,0,0] neg_hi:[1,0,0]
	v_pk_fma_f32 v[58:59], v[14:15], s[6:7], v[46:47]
	v_pk_fma_f32 v[60:61], v[28:29], s[24:25], v[50:51] op_sel:[1,0,0] neg_lo:[1,0,0] neg_hi:[1,0,0]
	v_mov_b32_e32 v53, v59
	v_pk_fma_f32 v[62:63], v[16:17], s[24:25], v[50:51]
	v_pk_add_f32 v[52:53], v[2:3], v[52:53]
	v_mov_b32_e32 v61, v63
	v_pk_add_f32 v[52:53], v[52:53], v[60:61]
	v_pk_mul_f32 v[60:61], v[40:41], s[8:9]
	v_pk_fma_f32 v[46:47], v[14:15], s[6:7], v[46:47] neg_lo:[0,0,1] neg_hi:[0,0,1]
	v_pk_fma_f32 v[64:65], v[30:31], s[4:5], v[60:61] op_sel:[1,0,0] neg_lo:[1,0,0] neg_hi:[1,0,0]
	v_pk_fma_f32 v[66:67], v[18:19], s[4:5], v[60:61]
	v_mov_b32_e32 v59, v47
	v_mov_b32_e32 v65, v67
	v_pk_add_f32 v[52:53], v[52:53], v[64:65]
	v_pk_mul_f32 v[64:65], v[42:43], s[16:17]
	v_pk_fma_f32 v[46:47], v[16:17], s[24:25], v[50:51] neg_lo:[0,0,1] neg_hi:[0,0,1]
	v_pk_fma_f32 v[68:69], v[34:35], s[10:11], v[64:65] op_sel:[1,0,0] neg_lo:[1,0,0] neg_hi:[1,0,0]
	v_pk_fma_f32 v[70:71], v[20:21], s[10:11], v[64:65]
	v_mov_b32_e32 v63, v47
	v_mov_b32_e32 v69, v71
	v_pk_add_f32 v[46:47], v[2:3], v[58:59]
	v_pk_fma_f32 v[50:51], v[18:19], s[4:5], v[60:61] neg_lo:[0,0,1] neg_hi:[0,0,1]
	v_pk_add_f32 v[52:53], v[52:53], v[68:69]
	v_pk_mul_f32 v[68:69], v[44:45], s[2:3]
	v_pk_add_f32 v[46:47], v[46:47], v[62:63]
	v_mov_b32_e32 v67, v51
	v_pk_fma_f32 v[50:51], v[20:21], s[10:11], v[64:65] neg_lo:[0,0,1] neg_hi:[0,0,1]
	v_pk_add_f32 v[56:57], v[56:57], v[72:73]
	v_pk_fma_f32 v[72:73], v[36:37], s[22:23], v[68:69] op_sel:[1,0,0] neg_lo:[1,0,0] neg_hi:[1,0,0]
	v_pk_fma_f32 v[74:75], v[22:23], s[22:23], v[68:69]
	v_pk_add_f32 v[46:47], v[46:47], v[66:67]
	v_mov_b32_e32 v71, v51
	v_pk_fma_f32 v[50:51], v[22:23], s[22:23], v[68:69] neg_lo:[0,0,1] neg_hi:[0,0,1]
	v_mov_b32_e32 v73, v75
	v_pk_add_f32 v[46:47], v[46:47], v[70:71]
	v_mov_b32_e32 v75, v51
	v_pk_add_f32 v[46:47], v[46:47], v[74:75]
	global_store_dwordx2 v[24:25], v[46:47], off
	v_pk_mul_f32 v[24:25], v[32:33], s[16:17]
	v_pk_mul_f32 v[32:33], v[38:39], s[20:21]
	;; [unrolled: 1-line block ×5, first 2 shown]
	v_pk_fma_f32 v[26:27], v[26:27], s[10:11], v[24:25] neg_lo:[1,0,0] neg_hi:[1,0,0]
	v_pk_fma_f32 v[44:45], v[14:15], s[10:11], v[24:25]
	v_pk_fma_f32 v[28:29], v[28:29], s[18:19], v[32:33] op_sel:[1,0,0] neg_lo:[1,0,0] neg_hi:[1,0,0]
	v_mov_b32_e32 v27, v45
	v_pk_fma_f32 v[46:47], v[16:17], s[18:19], v[32:33]
	v_pk_add_f32 v[26:27], v[2:3], v[26:27]
	v_mov_b32_e32 v29, v47
	v_pk_add_f32 v[26:27], v[26:27], v[28:29]
	v_pk_fma_f32 v[28:29], v[30:31], s[6:7], v[38:39] op_sel:[1,0,0] neg_lo:[1,0,0] neg_hi:[1,0,0]
	v_pk_fma_f32 v[30:31], v[18:19], s[6:7], v[38:39]
	v_pk_fma_f32 v[14:15], v[14:15], s[10:11], v[24:25] neg_lo:[0,0,1] neg_hi:[0,0,1]
	v_mov_b32_e32 v29, v31
	v_mov_b32_e32 v45, v15
	v_pk_fma_f32 v[14:15], v[16:17], s[18:19], v[32:33] neg_lo:[0,0,1] neg_hi:[0,0,1]
	v_pk_add_f32 v[26:27], v[26:27], v[28:29]
	v_pk_fma_f32 v[28:29], v[34:35], s[22:23], v[40:41] op_sel:[1,0,0] neg_lo:[1,0,0] neg_hi:[1,0,0]
	v_pk_fma_f32 v[34:35], v[20:21], s[22:23], v[40:41]
	v_pk_add_f32 v[2:3], v[2:3], v[44:45]
	v_mov_b32_e32 v47, v15
	v_pk_fma_f32 v[14:15], v[18:19], s[6:7], v[38:39] neg_lo:[0,0,1] neg_hi:[0,0,1]
	v_mov_b32_e32 v29, v35
	v_pk_add_f32 v[2:3], v[2:3], v[46:47]
	v_mov_b32_e32 v31, v15
	v_pk_fma_f32 v[14:15], v[20:21], s[22:23], v[40:41] neg_lo:[0,0,1] neg_hi:[0,0,1]
	v_pk_add_f32 v[26:27], v[26:27], v[28:29]
	v_pk_fma_f32 v[28:29], v[36:37], s[0:1], v[42:43] op_sel:[1,0,0] neg_lo:[1,0,0] neg_hi:[1,0,0]
	v_pk_fma_f32 v[36:37], v[22:23], s[0:1], v[42:43]
	v_pk_add_f32 v[2:3], v[2:3], v[30:31]
	v_mov_b32_e32 v35, v15
	v_pk_fma_f32 v[14:15], v[22:23], s[0:1], v[42:43] neg_lo:[0,0,1] neg_hi:[0,0,1]
	v_mov_b32_e32 v29, v37
	v_pk_add_f32 v[2:3], v[2:3], v[34:35]
	v_mov_b32_e32 v37, v15
	v_pk_add_f32 v[2:3], v[2:3], v[36:37]
	v_pk_add_f32 v[52:53], v[52:53], v[72:73]
	;; [unrolled: 1-line block ×3, first 2 shown]
	global_store_dwordx2 v[4:5], v[2:3], off
	global_store_dwordx2 v[6:7], v[26:27], off
	;; [unrolled: 1-line block ×6, first 2 shown]
	s_endpgm
	.section	.rodata,"a",@progbits
	.p2align	6, 0x0
	.amdhsa_kernel fft_rtc_back_len297_factors_9_3_11_wgs_231_tpt_33_halfLds_sp_ip_CI_sbrr_dirReg
		.amdhsa_group_segment_fixed_size 0
		.amdhsa_private_segment_fixed_size 0
		.amdhsa_kernarg_size 88
		.amdhsa_user_sgpr_count 2
		.amdhsa_user_sgpr_dispatch_ptr 0
		.amdhsa_user_sgpr_queue_ptr 0
		.amdhsa_user_sgpr_kernarg_segment_ptr 1
		.amdhsa_user_sgpr_dispatch_id 0
		.amdhsa_user_sgpr_kernarg_preload_length 0
		.amdhsa_user_sgpr_kernarg_preload_offset 0
		.amdhsa_user_sgpr_private_segment_size 0
		.amdhsa_uses_dynamic_stack 0
		.amdhsa_enable_private_segment 0
		.amdhsa_system_sgpr_workgroup_id_x 1
		.amdhsa_system_sgpr_workgroup_id_y 0
		.amdhsa_system_sgpr_workgroup_id_z 0
		.amdhsa_system_sgpr_workgroup_info 0
		.amdhsa_system_vgpr_workitem_id 0
		.amdhsa_next_free_vgpr 76
		.amdhsa_next_free_sgpr 32
		.amdhsa_accum_offset 76
		.amdhsa_reserve_vcc 1
		.amdhsa_float_round_mode_32 0
		.amdhsa_float_round_mode_16_64 0
		.amdhsa_float_denorm_mode_32 3
		.amdhsa_float_denorm_mode_16_64 3
		.amdhsa_dx10_clamp 1
		.amdhsa_ieee_mode 1
		.amdhsa_fp16_overflow 0
		.amdhsa_tg_split 0
		.amdhsa_exception_fp_ieee_invalid_op 0
		.amdhsa_exception_fp_denorm_src 0
		.amdhsa_exception_fp_ieee_div_zero 0
		.amdhsa_exception_fp_ieee_overflow 0
		.amdhsa_exception_fp_ieee_underflow 0
		.amdhsa_exception_fp_ieee_inexact 0
		.amdhsa_exception_int_div_zero 0
	.end_amdhsa_kernel
	.text
.Lfunc_end0:
	.size	fft_rtc_back_len297_factors_9_3_11_wgs_231_tpt_33_halfLds_sp_ip_CI_sbrr_dirReg, .Lfunc_end0-fft_rtc_back_len297_factors_9_3_11_wgs_231_tpt_33_halfLds_sp_ip_CI_sbrr_dirReg
                                        ; -- End function
	.section	.AMDGPU.csdata,"",@progbits
; Kernel info:
; codeLenInByte = 6852
; NumSgprs: 38
; NumVgprs: 76
; NumAgprs: 0
; TotalNumVgprs: 76
; ScratchSize: 0
; MemoryBound: 0
; FloatMode: 240
; IeeeMode: 1
; LDSByteSize: 0 bytes/workgroup (compile time only)
; SGPRBlocks: 4
; VGPRBlocks: 9
; NumSGPRsForWavesPerEU: 38
; NumVGPRsForWavesPerEU: 76
; AccumOffset: 76
; Occupancy: 6
; WaveLimiterHint : 1
; COMPUTE_PGM_RSRC2:SCRATCH_EN: 0
; COMPUTE_PGM_RSRC2:USER_SGPR: 2
; COMPUTE_PGM_RSRC2:TRAP_HANDLER: 0
; COMPUTE_PGM_RSRC2:TGID_X_EN: 1
; COMPUTE_PGM_RSRC2:TGID_Y_EN: 0
; COMPUTE_PGM_RSRC2:TGID_Z_EN: 0
; COMPUTE_PGM_RSRC2:TIDIG_COMP_CNT: 0
; COMPUTE_PGM_RSRC3_GFX90A:ACCUM_OFFSET: 18
; COMPUTE_PGM_RSRC3_GFX90A:TG_SPLIT: 0
	.text
	.p2alignl 6, 3212836864
	.fill 256, 4, 3212836864
	.type	__hip_cuid_baa6d4632d7a0842,@object ; @__hip_cuid_baa6d4632d7a0842
	.section	.bss,"aw",@nobits
	.globl	__hip_cuid_baa6d4632d7a0842
__hip_cuid_baa6d4632d7a0842:
	.byte	0                               ; 0x0
	.size	__hip_cuid_baa6d4632d7a0842, 1

	.ident	"AMD clang version 19.0.0git (https://github.com/RadeonOpenCompute/llvm-project roc-6.4.0 25133 c7fe45cf4b819c5991fe208aaa96edf142730f1d)"
	.section	".note.GNU-stack","",@progbits
	.addrsig
	.addrsig_sym __hip_cuid_baa6d4632d7a0842
	.amdgpu_metadata
---
amdhsa.kernels:
  - .agpr_count:     0
    .args:
      - .actual_access:  read_only
        .address_space:  global
        .offset:         0
        .size:           8
        .value_kind:     global_buffer
      - .offset:         8
        .size:           8
        .value_kind:     by_value
      - .actual_access:  read_only
        .address_space:  global
        .offset:         16
        .size:           8
        .value_kind:     global_buffer
      - .actual_access:  read_only
        .address_space:  global
        .offset:         24
        .size:           8
        .value_kind:     global_buffer
      - .offset:         32
        .size:           8
        .value_kind:     by_value
      - .actual_access:  read_only
        .address_space:  global
        .offset:         40
        .size:           8
        .value_kind:     global_buffer
      - .actual_access:  read_only
        .address_space:  global
        .offset:         48
        .size:           8
        .value_kind:     global_buffer
      - .offset:         56
        .size:           4
        .value_kind:     by_value
      - .actual_access:  read_only
        .address_space:  global
        .offset:         64
        .size:           8
        .value_kind:     global_buffer
      - .actual_access:  read_only
        .address_space:  global
        .offset:         72
        .size:           8
        .value_kind:     global_buffer
      - .address_space:  global
        .offset:         80
        .size:           8
        .value_kind:     global_buffer
    .group_segment_fixed_size: 0
    .kernarg_segment_align: 8
    .kernarg_segment_size: 88
    .language:       OpenCL C
    .language_version:
      - 2
      - 0
    .max_flat_workgroup_size: 231
    .name:           fft_rtc_back_len297_factors_9_3_11_wgs_231_tpt_33_halfLds_sp_ip_CI_sbrr_dirReg
    .private_segment_fixed_size: 0
    .sgpr_count:     38
    .sgpr_spill_count: 0
    .symbol:         fft_rtc_back_len297_factors_9_3_11_wgs_231_tpt_33_halfLds_sp_ip_CI_sbrr_dirReg.kd
    .uniform_work_group_size: 1
    .uses_dynamic_stack: false
    .vgpr_count:     76
    .vgpr_spill_count: 0
    .wavefront_size: 64
amdhsa.target:   amdgcn-amd-amdhsa--gfx950
amdhsa.version:
  - 1
  - 2
...

	.end_amdgpu_metadata
